;; amdgpu-corpus repo=ROCm/rocFFT kind=compiled arch=gfx950 opt=O3
	.text
	.amdgcn_target "amdgcn-amd-amdhsa--gfx950"
	.amdhsa_code_object_version 6
	.protected	fft_rtc_back_len768_factors_16_3_16_wgs_48_tpt_48_halfLds_half_op_CI_CI_unitstride_sbrr_dirReg ; -- Begin function fft_rtc_back_len768_factors_16_3_16_wgs_48_tpt_48_halfLds_half_op_CI_CI_unitstride_sbrr_dirReg
	.globl	fft_rtc_back_len768_factors_16_3_16_wgs_48_tpt_48_halfLds_half_op_CI_CI_unitstride_sbrr_dirReg
	.p2align	8
	.type	fft_rtc_back_len768_factors_16_3_16_wgs_48_tpt_48_halfLds_half_op_CI_CI_unitstride_sbrr_dirReg,@function
fft_rtc_back_len768_factors_16_3_16_wgs_48_tpt_48_halfLds_half_op_CI_CI_unitstride_sbrr_dirReg: ; @fft_rtc_back_len768_factors_16_3_16_wgs_48_tpt_48_halfLds_half_op_CI_CI_unitstride_sbrr_dirReg
; %bb.0:
	s_load_dwordx4 s[4:7], s[0:1], 0x58
	s_load_dwordx4 s[8:11], s[0:1], 0x0
	;; [unrolled: 1-line block ×3, first 2 shown]
	v_mul_u32_u24_e32 v1, 0x556, v0
	v_add_u32_sdwa v10, s2, v1 dst_sel:DWORD dst_unused:UNUSED_PAD src0_sel:DWORD src1_sel:WORD_1
	v_mov_b32_e32 v4, 0
	s_waitcnt lgkmcnt(0)
	v_cmp_lt_u64_e64 s[2:3], s[10:11], 2
	v_mov_b32_e32 v11, v4
	s_and_b64 vcc, exec, s[2:3]
	v_mov_b64_e32 v[8:9], 0
	s_cbranch_vccnz .LBB0_8
; %bb.1:
	s_load_dwordx2 s[2:3], s[0:1], 0x10
	s_add_u32 s16, s14, 8
	s_addc_u32 s17, s15, 0
	s_add_u32 s18, s12, 8
	s_addc_u32 s19, s13, 0
	s_waitcnt lgkmcnt(0)
	s_add_u32 s20, s2, 8
	v_mov_b64_e32 v[8:9], 0
	s_addc_u32 s21, s3, 0
	s_mov_b64 s[22:23], 1
	v_mov_b64_e32 v[2:3], v[8:9]
.LBB0_2:                                ; =>This Inner Loop Header: Depth=1
	s_load_dwordx2 s[24:25], s[20:21], 0x0
                                        ; implicit-def: $vgpr6_vgpr7
	s_waitcnt lgkmcnt(0)
	v_or_b32_e32 v5, s25, v11
	v_cmp_ne_u64_e32 vcc, 0, v[4:5]
	s_and_saveexec_b64 s[2:3], vcc
	s_xor_b64 s[26:27], exec, s[2:3]
	s_cbranch_execz .LBB0_4
; %bb.3:                                ;   in Loop: Header=BB0_2 Depth=1
	v_cvt_f32_u32_e32 v1, s24
	v_cvt_f32_u32_e32 v5, s25
	s_sub_u32 s2, 0, s24
	s_subb_u32 s3, 0, s25
	v_fmac_f32_e32 v1, 0x4f800000, v5
	v_rcp_f32_e32 v1, v1
	s_nop 0
	v_mul_f32_e32 v1, 0x5f7ffffc, v1
	v_mul_f32_e32 v5, 0x2f800000, v1
	v_trunc_f32_e32 v5, v5
	v_fmac_f32_e32 v1, 0xcf800000, v5
	v_cvt_u32_f32_e32 v5, v5
	v_cvt_u32_f32_e32 v1, v1
	v_mul_lo_u32 v6, s2, v5
	v_mul_hi_u32 v12, s2, v1
	v_mul_lo_u32 v7, s3, v1
	v_add_u32_e32 v12, v12, v6
	v_mul_lo_u32 v14, s2, v1
	v_add_u32_e32 v15, v12, v7
	v_mul_hi_u32 v6, v1, v14
	v_mul_hi_u32 v13, v1, v15
	v_mul_lo_u32 v12, v1, v15
	v_mov_b32_e32 v7, v4
	v_lshl_add_u64 v[6:7], v[6:7], 0, v[12:13]
	v_mul_hi_u32 v13, v5, v14
	v_mul_lo_u32 v14, v5, v14
	v_add_co_u32_e32 v6, vcc, v6, v14
	v_mul_hi_u32 v12, v5, v15
	s_nop 0
	v_addc_co_u32_e32 v6, vcc, v7, v13, vcc
	v_mov_b32_e32 v7, v4
	s_nop 0
	v_addc_co_u32_e32 v13, vcc, 0, v12, vcc
	v_mul_lo_u32 v12, v5, v15
	v_lshl_add_u64 v[6:7], v[6:7], 0, v[12:13]
	v_add_co_u32_e32 v1, vcc, v1, v6
	v_mul_lo_u32 v12, s2, v1
	s_nop 0
	v_addc_co_u32_e32 v5, vcc, v5, v7, vcc
	v_mul_lo_u32 v6, s2, v5
	v_mul_hi_u32 v7, s2, v1
	v_add_u32_e32 v6, v7, v6
	v_mul_lo_u32 v7, s3, v1
	v_add_u32_e32 v14, v6, v7
	v_mul_hi_u32 v16, v5, v12
	v_mul_lo_u32 v17, v5, v12
	v_mul_hi_u32 v7, v1, v14
	v_mul_lo_u32 v6, v1, v14
	v_mul_hi_u32 v12, v1, v12
	v_mov_b32_e32 v13, v4
	v_lshl_add_u64 v[6:7], v[12:13], 0, v[6:7]
	v_add_co_u32_e32 v6, vcc, v6, v17
	v_mul_hi_u32 v15, v5, v14
	s_nop 0
	v_addc_co_u32_e32 v6, vcc, v7, v16, vcc
	v_mul_lo_u32 v12, v5, v14
	s_nop 0
	v_addc_co_u32_e32 v13, vcc, 0, v15, vcc
	v_mov_b32_e32 v7, v4
	v_lshl_add_u64 v[6:7], v[6:7], 0, v[12:13]
	v_add_co_u32_e32 v1, vcc, v1, v6
	v_mul_hi_u32 v12, v10, v1
	s_nop 0
	v_addc_co_u32_e32 v5, vcc, v5, v7, vcc
	v_mad_u64_u32 v[6:7], s[2:3], v10, v5, 0
	v_mov_b32_e32 v13, v4
	v_lshl_add_u64 v[6:7], v[12:13], 0, v[6:7]
	v_mad_u64_u32 v[14:15], s[2:3], v11, v1, 0
	v_add_co_u32_e32 v1, vcc, v6, v14
	v_mad_u64_u32 v[12:13], s[2:3], v11, v5, 0
	s_nop 0
	v_addc_co_u32_e32 v6, vcc, v7, v15, vcc
	v_mov_b32_e32 v7, v4
	s_nop 0
	v_addc_co_u32_e32 v13, vcc, 0, v13, vcc
	v_lshl_add_u64 v[6:7], v[6:7], 0, v[12:13]
	v_mul_lo_u32 v1, s25, v6
	v_mul_lo_u32 v5, s24, v7
	v_mad_u64_u32 v[12:13], s[2:3], s24, v6, 0
	v_add3_u32 v1, v13, v5, v1
	v_sub_u32_e32 v5, v11, v1
	v_mov_b32_e32 v13, s25
	v_sub_co_u32_e32 v16, vcc, v10, v12
	v_lshl_add_u64 v[14:15], v[6:7], 0, 1
	s_nop 0
	v_subb_co_u32_e64 v5, s[2:3], v5, v13, vcc
	v_subrev_co_u32_e64 v12, s[2:3], s24, v16
	v_subb_co_u32_e32 v1, vcc, v11, v1, vcc
	s_nop 0
	v_subbrev_co_u32_e64 v5, s[2:3], 0, v5, s[2:3]
	v_cmp_le_u32_e64 s[2:3], s25, v5
	v_cmp_le_u32_e32 vcc, s25, v1
	s_nop 0
	v_cndmask_b32_e64 v13, 0, -1, s[2:3]
	v_cmp_le_u32_e64 s[2:3], s24, v12
	s_nop 1
	v_cndmask_b32_e64 v12, 0, -1, s[2:3]
	v_cmp_eq_u32_e64 s[2:3], s25, v5
	s_nop 1
	v_cndmask_b32_e64 v5, v13, v12, s[2:3]
	v_lshl_add_u64 v[12:13], v[6:7], 0, 2
	v_cmp_ne_u32_e64 s[2:3], 0, v5
	s_nop 1
	v_cndmask_b32_e64 v5, v15, v13, s[2:3]
	v_cndmask_b32_e64 v13, 0, -1, vcc
	v_cmp_le_u32_e32 vcc, s24, v16
	s_nop 1
	v_cndmask_b32_e64 v15, 0, -1, vcc
	v_cmp_eq_u32_e32 vcc, s25, v1
	s_nop 1
	v_cndmask_b32_e32 v1, v13, v15, vcc
	v_cmp_ne_u32_e32 vcc, 0, v1
	v_cndmask_b32_e64 v1, v14, v12, s[2:3]
	s_nop 0
	v_cndmask_b32_e32 v7, v7, v5, vcc
	v_cndmask_b32_e32 v6, v6, v1, vcc
.LBB0_4:                                ;   in Loop: Header=BB0_2 Depth=1
	s_andn2_saveexec_b64 s[2:3], s[26:27]
	s_cbranch_execz .LBB0_6
; %bb.5:                                ;   in Loop: Header=BB0_2 Depth=1
	v_cvt_f32_u32_e32 v1, s24
	s_sub_i32 s26, 0, s24
	v_rcp_iflag_f32_e32 v1, v1
	s_nop 0
	v_mul_f32_e32 v1, 0x4f7ffffe, v1
	v_cvt_u32_f32_e32 v1, v1
	v_mul_lo_u32 v5, s26, v1
	v_mul_hi_u32 v5, v1, v5
	v_add_u32_e32 v1, v1, v5
	v_mul_hi_u32 v1, v10, v1
	v_mul_lo_u32 v5, v1, s24
	v_sub_u32_e32 v5, v10, v5
	v_add_u32_e32 v6, 1, v1
	v_subrev_u32_e32 v7, s24, v5
	v_cmp_le_u32_e32 vcc, s24, v5
	s_nop 1
	v_cndmask_b32_e32 v5, v5, v7, vcc
	v_cndmask_b32_e32 v1, v1, v6, vcc
	v_add_u32_e32 v6, 1, v1
	v_cmp_le_u32_e32 vcc, s24, v5
	v_mov_b32_e32 v7, v4
	s_nop 0
	v_cndmask_b32_e32 v6, v1, v6, vcc
.LBB0_6:                                ;   in Loop: Header=BB0_2 Depth=1
	s_or_b64 exec, exec, s[2:3]
	v_mad_u64_u32 v[12:13], s[2:3], v6, s24, 0
	s_load_dwordx2 s[2:3], s[18:19], 0x0
	v_mul_lo_u32 v1, v7, s24
	v_mul_lo_u32 v5, v6, s25
	s_load_dwordx2 s[24:25], s[16:17], 0x0
	s_add_u32 s22, s22, 1
	v_add3_u32 v1, v13, v5, v1
	v_sub_co_u32_e32 v5, vcc, v10, v12
	s_addc_u32 s23, s23, 0
	s_nop 0
	v_subb_co_u32_e32 v1, vcc, v11, v1, vcc
	s_add_u32 s16, s16, 8
	s_waitcnt lgkmcnt(0)
	v_mul_lo_u32 v10, s2, v1
	v_mul_lo_u32 v11, s3, v5
	v_mad_u64_u32 v[8:9], s[2:3], s2, v5, v[8:9]
	s_addc_u32 s17, s17, 0
	v_add3_u32 v9, v11, v9, v10
	v_mul_lo_u32 v1, s24, v1
	v_mul_lo_u32 v10, s25, v5
	v_mad_u64_u32 v[2:3], s[2:3], s24, v5, v[2:3]
	s_add_u32 s18, s18, 8
	v_add3_u32 v3, v10, v3, v1
	s_addc_u32 s19, s19, 0
	v_mov_b64_e32 v[10:11], s[10:11]
	s_add_u32 s20, s20, 8
	v_cmp_ge_u64_e32 vcc, s[22:23], v[10:11]
	s_addc_u32 s21, s21, 0
	s_cbranch_vccnz .LBB0_9
; %bb.7:                                ;   in Loop: Header=BB0_2 Depth=1
	v_mov_b64_e32 v[10:11], v[6:7]
	s_branch .LBB0_2
.LBB0_8:
	v_mov_b64_e32 v[2:3], v[8:9]
	v_mov_b64_e32 v[6:7], v[10:11]
.LBB0_9:
	s_load_dwordx2 s[0:1], s[0:1], 0x28
	s_lshl_b64 s[10:11], s[10:11], 3
	s_add_u32 s2, s14, s10
	s_addc_u32 s3, s15, s11
                                        ; implicit-def: $sgpr14
                                        ; implicit-def: $vgpr1
                                        ; implicit-def: $vgpr5
	s_waitcnt lgkmcnt(0)
	v_cmp_gt_u64_e32 vcc, s[0:1], v[6:7]
	v_cmp_le_u64_e64 s[0:1], s[0:1], v[6:7]
	s_and_saveexec_b64 s[16:17], s[0:1]
	s_xor_b64 s[0:1], exec, s[16:17]
; %bb.10:
	s_mov_b32 s14, 0x5555556
	v_mul_hi_u32 v1, v0, s14
	v_mul_u32_u24_e32 v1, 48, v1
	v_sub_u32_e32 v1, v0, v1
	v_or_b32_e32 v5, 0xc0, v1
	s_mov_b32 s14, 0
                                        ; implicit-def: $vgpr0
                                        ; implicit-def: $vgpr8_vgpr9
; %bb.11:
	s_or_saveexec_b64 s[0:1], s[0:1]
	v_mov_b32_e32 v4, s14
	v_mov_b32_e32 v13, s14
	;; [unrolled: 1-line block ×9, first 2 shown]
                                        ; implicit-def: $vgpr17
                                        ; implicit-def: $vgpr18
                                        ; implicit-def: $vgpr24
                                        ; implicit-def: $vgpr23
                                        ; implicit-def: $vgpr21
                                        ; implicit-def: $vgpr15
                                        ; implicit-def: $vgpr26
                                        ; implicit-def: $vgpr25
                                        ; implicit-def: $vgpr19
	s_xor_b64 exec, exec, s[0:1]
	s_cbranch_execz .LBB0_13
; %bb.12:
	s_add_u32 s10, s12, s10
	s_addc_u32 s11, s13, s11
	s_load_dwordx2 s[10:11], s[10:11], 0x0
	s_mov_b32 s12, 0x5555556
	s_waitcnt lgkmcnt(0)
	v_mul_lo_u32 v1, s11, v6
	v_mul_lo_u32 v10, s10, v7
	v_mad_u64_u32 v[4:5], s[10:11], s10, v6, 0
	v_add3_u32 v5, v5, v10, v1
	v_mul_hi_u32 v1, v0, s12
	v_mul_u32_u24_e32 v1, 48, v1
	v_sub_u32_e32 v1, v0, v1
	v_lshl_add_u64 v[4:5], v[4:5], 2, s[4:5]
	v_lshl_add_u64 v[4:5], v[8:9], 2, v[4:5]
	v_lshlrev_b32_e32 v8, 2, v1
	v_mov_b32_e32 v9, 0
	v_lshl_add_u64 v[4:5], v[4:5], 0, v[8:9]
	global_load_dword v13, v[4:5], off
	global_load_dword v11, v[4:5], off offset:192
	global_load_dword v16, v[4:5], off offset:384
	;; [unrolled: 1-line block ×15, first 2 shown]
	s_mov_b32 s4, 0xffff
	v_or_b32_e32 v5, 0xc0, v1
	v_mov_b32_e32 v4, v1
	s_waitcnt vmcnt(7)
	v_lshrrev_b32_e32 v17, 16, v0
	s_waitcnt vmcnt(3)
	v_bfi_b32 v19, s4, v0, v18
.LBB0_13:
	s_or_b64 exec, exec, s[0:1]
	s_mov_b32 s0, 0xffff
	s_waitcnt vmcnt(1)
	v_pk_add_f16 v26, v16, v26 op_sel:[1,1] op_sel_hi:[0,0] neg_lo:[0,1] neg_hi:[0,1]
	v_sub_f16_e32 v0, v20, v18
	v_bfi_b32 v18, s0, v13, v20
	v_lshrrev_b32_e32 v31, 16, v26
	v_pk_add_f16 v25, v22, v25 neg_lo:[0,1] neg_hi:[0,1]
	v_pk_add_f16 v19, v18, v19 neg_lo:[0,1] neg_hi:[0,1]
	v_fma_f16 v9, v20, 2.0, -v0
	v_lshrrev_b32_e32 v20, 16, v16
	v_fma_f16 v16, v16, 2.0, -v31
	v_lshrrev_b32_e32 v32, 16, v22
	;; [unrolled: 2-line block ×3, first 2 shown]
	v_alignbit_b32 v29, s0, v19, 16
	v_fma_f16 v20, v20, 2.0, -v26
	v_fma_f16 v32, v32, 2.0, -v33
	v_sub_f16_e32 v33, v16, v22
	v_pk_add_f16 v22, v26, v25 neg_lo:[0,1] neg_hi:[0,1]
	v_pk_add_f16 v25, v26, v25
	v_pk_add_f16 v29, v19, v29
	v_sub_f16_e32 v34, v20, v32
	v_bfi_b32 v32, s0, v22, v25
	v_lshrrev_b32_e32 v25, 16, v25
	v_fma_f16 v30, v19, 2.0, -v29
	v_fma_f16 v25, v31, 2.0, -v25
	s_mov_b32 s4, 0xb9a8
	v_fma_f16 v22, v26, 2.0, -v22
	s_movk_i32 s1, 0x39a8
	v_mul_f16_e32 v35, 0x39a8, v25
	v_fma_f16 v25, v25, s4, v30
	v_pk_add_f16 v23, v12, v23 neg_lo:[0,1] neg_hi:[0,1]
	v_lshrrev_b32_e32 v27, 16, v11
	v_mul_f16_e32 v37, 0x39a8, v22
	v_fma_f16 v22, v22, s1, v25
	v_pk_mul_f16 v36, v32, s1 op_sel_hi:[1,0]
	s_waitcnt vmcnt(0)
	v_pk_add_f16 v24, v11, v24 op_sel:[1,1] op_sel_hi:[0,0] neg_lo:[0,1] neg_hi:[0,1]
	v_lshrrev_b32_e32 v31, 16, v12
	v_lshrrev_b32_e32 v32, 16, v23
	v_pk_add_f16 v21, v10, v21 op_sel:[1,1] op_sel_hi:[0,0] neg_lo:[0,1] neg_hi:[0,1]
	v_pk_add_f16 v15, v14, v15 neg_lo:[0,1] neg_hi:[0,1]
	v_lshrrev_b32_e32 v28, 16, v10
	v_fma_f16 v25, v30, 2.0, -v22
	v_lshrrev_b32_e32 v30, 16, v24
	v_fma_f16 v27, v27, 2.0, -v24
	v_fma_f16 v31, v31, 2.0, -v32
	v_lshrrev_b32_e32 v32, 16, v21
	v_lshrrev_b32_e32 v38, 16, v14
	;; [unrolled: 1-line block ×3, first 2 shown]
	v_fma_f16 v11, v11, 2.0, -v30
	v_fma_f16 v12, v12, 2.0, -v23
	v_fma_f16 v10, v10, 2.0, -v32
	v_fma_f16 v28, v28, 2.0, -v21
	v_fma_f16 v14, v14, 2.0, -v15
	v_fma_f16 v39, v38, 2.0, -v39
	v_sub_f16_e32 v31, v27, v31
	v_sub_f16_e32 v12, v11, v12
	v_fma_f16 v38, v27, 2.0, -v31
	v_pk_add_f16 v27, v24, v23 neg_lo:[0,1] neg_hi:[0,1]
	v_pk_add_f16 v23, v24, v23
	v_sub_f16_e32 v14, v10, v14
	v_sub_f16_e32 v43, v28, v39
	v_pk_add_f16 v39, v21, v15 neg_lo:[0,1] neg_hi:[0,1]
	v_pk_add_f16 v15, v21, v15
	v_fma_f16 v11, v11, 2.0, -v12
	v_bfi_b32 v42, s0, v27, v23
	v_lshrrev_b32_e32 v23, 16, v23
	v_fma_f16 v24, v24, 2.0, -v27
	v_fma_f16 v10, v10, 2.0, -v14
	;; [unrolled: 1-line block ×3, first 2 shown]
	v_bfi_b32 v46, s0, v39, v15
	v_lshrrev_b32_e32 v15, 16, v15
	v_fma_f16 v21, v21, 2.0, -v39
	v_fma_f16 v30, v30, 2.0, -v23
	;; [unrolled: 1-line block ×3, first 2 shown]
	v_sub_f16_e32 v39, v11, v10
	v_sub_f16_e32 v44, v38, v28
	v_fma_f16 v28, v21, s4, v24
	v_fma_f16 v10, v11, 2.0, -v39
	v_fma_f16 v11, v15, s4, v30
	v_fma_f16 v41, v15, s4, v28
	v_fma_f16 v40, v21, s1, v11
	v_fma_f16 v47, v24, 2.0, -v41
	v_pk_mul_f16 v21, v46, s1 op_sel_hi:[1,0]
	v_pk_fma_f16 v24, v46, s1, v42 op_sel_hi:[1,0,1]
	v_fma_f16 v8, v13, 2.0, -v19
	v_alignbit_b32 v26, s0, v36, 16
	v_pk_add_f16 v42, v24, v21 op_sel:[0,1] op_sel_hi:[1,0] neg_lo:[0,1] neg_hi:[0,1]
	v_pk_add_f16 v21, v24, v21 op_sel:[0,1] op_sel_hi:[1,0]
	v_sub_f16_e32 v9, v8, v9
	v_pk_add_f16 v26, v29, v26
	v_add_f16_e32 v11, v12, v43
	v_sub_f16_e32 v14, v31, v14
	v_bfi_b32 v24, s0, v42, v21
	s_mov_b32 s5, 0x3b64361f
	v_fma_f16 v12, v12, 2.0, -v11
	v_fma_f16 v15, v31, 2.0, -v14
	v_mul_f16_e32 v50, 0x39a8, v11
	v_mul_f16_e32 v51, 0x39a8, v14
	v_pk_mul_f16 v11, v24, s5
	v_pack_b32_f16 v14, v9, v36
	v_pack_b32_f16 v24, v34, v26
	v_pk_add_f16 v14, v14, v24
	v_fma_f16 v8, v8, 2.0, -v9
	v_fma_f16 v16, v16, 2.0, -v33
	v_lshrrev_b32_e32 v43, 16, v21
	v_fma_f16 v9, v9, 2.0, -v14
	v_lshrrev_b32_e32 v24, 16, v14
	v_sub_f16_e32 v16, v8, v16
	v_fma_f16 v45, v30, 2.0, -v40
	v_fma_f16 v48, v23, 2.0, -v43
	s_mov_b32 s10, 0xbb64
	v_mul_f16_e32 v52, 0x39a8, v12
	v_fma_f16 v24, v29, 2.0, -v24
	v_fma_f16 v12, v12, s4, v9
	s_mov_b32 s13, 0xb61f
	v_fma_f16 v8, v8, 2.0, -v16
	v_fma_f16 v49, v27, 2.0, -v42
	v_fma_f16 v21, v45, s10, v25
	s_movk_i32 s11, 0x361f
	v_mul_f16_e32 v53, 0x39a8, v15
	s_movk_i32 s12, 0x3b64
	v_fma_f16 v12, v15, s1, v12
	v_fma_f16 v15, v48, s13, v24
	v_sub_f16_e32 v10, v8, v10
	v_fma_f16 v21, v47, s11, v21
	v_fma_f16 v27, v40, s11, v22
	;; [unrolled: 1-line block ×3, first 2 shown]
	v_bfi_b32 v26, s0, v50, v11
	v_fma_f16 v8, v8, 2.0, -v10
	v_fma_f16 v23, v25, 2.0, -v21
	v_add_f16_e32 v25, v16, v44
	v_fma_f16 v27, v41, s12, v27
	v_fma_f16 v9, v9, 2.0, -v12
	v_fma_f16 v24, v24, 2.0, -v15
	v_pk_add_f16 v26, v14, v26
	v_pack_b32_f16 v11, v51, v11
	v_fma_f16 v16, v16, 2.0, -v25
	v_fma_f16 v22, v22, 2.0, -v27
	v_lshl_add_u32 v46, v1, 5, 0
	v_pk_add_f16 v29, v11, v26
	v_pack_b32_f16 v8, v8, v23
	v_pack_b32_f16 v9, v9, v24
	v_pk_fma_f16 v11, v14, 2.0, v29 op_sel_hi:[1,0,1] neg_lo:[0,0,1] neg_hi:[0,0,1]
	ds_write2_b32 v46, v8, v9 offset1:1
	v_pack_b32_f16 v8, v16, v22
	ds_write2_b32 v46, v8, v11 offset0:2 offset1:3
	v_pack_b32_f16 v8, v12, v15
	v_pack_b32_f16 v9, v10, v21
	ds_write2_b32 v46, v9, v8 offset0:4 offset1:5
	v_pack_b32_f16 v8, v25, v27
	s_movk_i32 s0, 0xffe2
	ds_write2_b32 v46, v8, v29 offset0:6 offset1:7
	v_mad_i32_i24 v8, v1, s0, v46
	s_load_dwordx2 s[2:3], s[2:3], 0x0
	s_waitcnt lgkmcnt(0)
	; wave barrier
	s_waitcnt lgkmcnt(0)
	ds_read_u16 v14, v8 offset:96
	ds_read_u16 v15, v8 offset:192
	;; [unrolled: 1-line block ×7, first 2 shown]
	v_lshl_add_u32 v9, v5, 1, 0
	ds_read_u16 v16, v8
	ds_read_u16 v11, v9
	ds_read_u16 v30, v8 offset:1120
	ds_read_u16 v27, v8 offset:1216
	;; [unrolled: 1-line block ×6, first 2 shown]
	v_mul_i32_i24_e32 v8, 0xffffffe2, v1
	v_lshrrev_b32_e32 v10, 16, v29
	v_cmp_gt_u32_e64 s[0:1], 16, v1
	v_add_u32_e32 v8, v46, v8
                                        ; implicit-def: $vgpr29
                                        ; implicit-def: $vgpr31
	s_and_saveexec_b64 s[4:5], s[0:1]
	s_cbranch_execz .LBB0_15
; %bb.14:
	ds_read_u16 v10, v8 offset:480
	ds_read_u16 v31, v8 offset:992
	;; [unrolled: 1-line block ×3, first 2 shown]
.LBB0_15:
	s_or_b64 exec, exec, s[4:5]
	v_lshrrev_b32_e32 v13, 16, v13
	v_sub_f16_e32 v17, v13, v17
	v_lshrrev_b32_e32 v18, 16, v18
	v_lshrrev_b32_e32 v19, 16, v19
	v_sub_f16_e32 v0, v17, v0
	v_fma_f16 v18, v18, 2.0, -v19
	v_fma_f16 v19, v20, 2.0, -v34
	v_add_f16_e32 v34, v0, v36
	v_fma_f16 v13, v13, 2.0, -v17
	v_fma_f16 v17, v17, 2.0, -v0
	v_sub_f16_sdwa v34, v34, v36 dst_sel:DWORD dst_unused:UNUSED_PAD src0_sel:DWORD src1_sel:WORD_1
	v_sub_f16_e32 v20, v17, v37
	v_fma_f16 v0, v0, 2.0, -v34
	v_sub_f16_e32 v18, v13, v18
	v_sub_f16_e32 v20, v20, v35
	v_fma_f16 v35, v38, 2.0, -v44
	v_fma_f16 v38, v49, s13, v0
	v_fma_f16 v13, v13, 2.0, -v18
	v_sub_f16_e32 v33, v18, v33
	v_fma_f16 v38, v48, s10, v38
	v_sub_f16_e32 v19, v13, v19
	v_fma_f16 v17, v17, 2.0, -v20
	v_fma_f16 v18, v18, 2.0, -v33
	;; [unrolled: 1-line block ×3, first 2 shown]
	v_fma_f16 v0, v41, s11, v20
	v_fma_f16 v13, v13, 2.0, -v19
	v_fma_f16 v36, v47, s10, v17
	v_sub_f16_e32 v37, v18, v53
	v_fma_f16 v40, v40, s10, v0
	v_add_f16_e32 v0, v33, v51
	v_sub_f16_e32 v35, v13, v35
	v_fma_f16 v36, v45, s13, v36
	v_sub_f16_e32 v37, v37, v52
	v_sub_f16_e32 v41, v0, v50
	v_fma_f16 v0, v42, s12, v34
	v_fma_f16 v13, v13, 2.0, -v35
	v_fma_f16 v17, v17, 2.0, -v36
	;; [unrolled: 1-line block ×3, first 2 shown]
	v_sub_f16_e32 v39, v19, v39
	v_fma_f16 v0, v43, s13, v0
	v_fma_f16 v19, v19, 2.0, -v39
	v_fma_f16 v20, v20, 2.0, -v40
	;; [unrolled: 1-line block ×4, first 2 shown]
	v_pack_b32_f16 v18, v18, v44
	v_pack_b32_f16 v13, v13, v17
	s_waitcnt lgkmcnt(0)
	; wave barrier
	s_waitcnt lgkmcnt(0)
	ds_write2_b32 v46, v13, v18 offset1:1
	v_pack_b32_f16 v13, v33, v34
	v_pack_b32_f16 v17, v19, v20
	ds_write2_b32 v46, v17, v13 offset0:2 offset1:3
	v_pack_b32_f16 v13, v37, v38
	v_pack_b32_f16 v17, v35, v36
	ds_write2_b32 v46, v17, v13 offset0:4 offset1:5
	;; [unrolled: 3-line block ×3, first 2 shown]
	s_waitcnt lgkmcnt(0)
	; wave barrier
	s_waitcnt lgkmcnt(0)
	ds_read_u16 v19, v8 offset:96
	ds_read_u16 v18, v8 offset:192
	;; [unrolled: 1-line block ×7, first 2 shown]
	ds_read_u16 v20, v8
	ds_read_u16 v13, v9
	ds_read_u16 v43, v8 offset:1120
	ds_read_u16 v40, v8 offset:1216
	;; [unrolled: 1-line block ×6, first 2 shown]
                                        ; implicit-def: $vgpr38
                                        ; implicit-def: $vgpr41
	s_and_saveexec_b64 s[4:5], s[0:1]
	s_cbranch_execz .LBB0_17
; %bb.16:
	ds_read_u16 v0, v8 offset:480
	ds_read_u16 v41, v8 offset:992
	;; [unrolled: 1-line block ×3, first 2 shown]
.LBB0_17:
	s_or_b64 exec, exec, s[4:5]
	v_lshlrev_b32_e32 v45, 3, v1
	v_and_b32_e32 v45, 0x78, v45
	v_and_b32_e32 v54, 15, v1
	global_load_dword v52, v45, s[8:9]
	global_load_dword v46, v45, s[8:9] offset:2
	global_load_dword v53, v45, s[8:9] offset:4
	v_lshlrev_b32_e32 v47, 3, v54
	global_load_ushort v45, v45, s[8:9] offset:6
	s_mov_b32 s10, 0xbaee
	global_load_ushort v55, v47, s[8:9]
	s_movk_i32 s11, 0x3aee
	v_add_u32_e32 v56, 48, v1
	s_waitcnt lgkmcnt(0)
	; wave barrier
	s_waitcnt lgkmcnt(0)
	v_add_u32_e32 v57, 0x60, v1
	v_add_u32_e32 v58, 0x90, v1
	v_lshrrev_b32_e32 v5, 4, v5
	v_mul_lo_u32 v5, v5, 48
	v_or_b32_e32 v5, v5, v54
	s_waitcnt vmcnt(4)
	v_mul_f16_sdwa v47, v42, v52 dst_sel:DWORD dst_unused:UNUSED_PAD src0_sel:DWORD src1_sel:WORD_1
	v_mul_f16_sdwa v48, v28, v52 dst_sel:DWORD dst_unused:UNUSED_PAD src0_sel:DWORD src1_sel:WORD_1
	s_waitcnt vmcnt(3)
	v_lshrrev_b32_e32 v59, 16, v46
	s_waitcnt vmcnt(2)
	v_mul_f16_sdwa v49, v44, v53 dst_sel:DWORD dst_unused:UNUSED_PAD src0_sel:DWORD src1_sel:WORD_1
	v_mul_f16_sdwa v51, v32, v53 dst_sel:DWORD dst_unused:UNUSED_PAD src0_sel:DWORD src1_sel:WORD_1
	;; [unrolled: 1-line block ×17, first 2 shown]
	v_mul_f16_e32 v76, v41, v46
	v_mul_f16_e32 v77, v31, v46
	s_waitcnt vmcnt(1)
	v_mul_f16_e32 v78, v38, v45
	v_mul_f16_e32 v79, v29, v45
	s_waitcnt vmcnt(0)
	v_fma_f16 v46, v28, v55, v47
	v_fma_f16 v50, v42, v55, -v48
	v_fma_f16 v48, v32, v59, v49
	v_fma_f16 v51, v44, v59, -v51
	;; [unrolled: 2-line block ×3, first 2 shown]
	v_fma_f16 v45, v30, v59, v62
	v_fma_f16 v36, v21, v55, v64
	;; [unrolled: 1-line block ×5, first 2 shown]
	v_mul_f16_sdwa v73, v26, v52 dst_sel:DWORD dst_unused:UNUSED_PAD src0_sel:DWORD src1_sel:WORD_1
	v_fma_f16 v49, v43, v59, -v63
	v_fma_f16 v43, v33, v55, -v65
	;; [unrolled: 1-line block ×5, first 2 shown]
	v_fma_f16 v21, v26, v55, v72
	v_fma_f16 v22, v24, v59, v74
	v_fma_f16 v24, v35, v59, -v75
	v_fma_f16 v26, v31, v52, v76
	v_fma_f16 v28, v41, v52, -v77
	;; [unrolled: 2-line block ×3, first 2 shown]
	v_add_f16_e32 v31, v46, v48
	v_add_f16_e32 v38, v44, v45
	;; [unrolled: 1-line block ×4, first 2 shown]
	v_fma_f16 v30, v39, v55, -v73
	v_add_f16_e32 v25, v16, v46
	v_add_f16_e32 v37, v14, v44
	v_sub_f16_e32 v39, v47, v49
	v_add_f16_e32 v41, v15, v36
	v_sub_f16_e32 v53, v43, v40
	v_add_f16_e32 v55, v12, v23
	v_fma_f16 v16, v31, -0.5, v16
	v_fma_f16 v14, v38, -0.5, v14
	;; [unrolled: 1-line block ×4, first 2 shown]
	v_sub_f16_e32 v31, v33, v34
	v_add_f16_e32 v38, v41, v42
	v_add_f16_e32 v41, v55, v32
	v_fma_f16 v55, v39, s10, v14
	v_fma_f16 v14, v39, s11, v14
	;; [unrolled: 1-line block ×6, first 2 shown]
	v_add_f16_e32 v31, v11, v21
	v_add_f16_e32 v59, v31, v22
	;; [unrolled: 1-line block ×3, first 2 shown]
	v_fma_f16 v11, v31, -0.5, v11
	v_sub_f16_e32 v31, v30, v24
	v_fma_f16 v60, v31, s10, v11
	v_fma_f16 v11, v31, s11, v11
	v_lshrrev_b32_e32 v31, 4, v1
	v_mul_u32_u24_e32 v31, 48, v31
	v_sub_f16_e32 v35, v50, v51
	v_or_b32_e32 v31, v31, v54
	v_add_f16_e32 v25, v25, v48
	v_fma_f16 v52, v35, s10, v16
	v_fma_f16 v16, v35, s11, v16
	v_lshl_add_u32 v31, v31, 1, 0
	ds_write_b16 v31, v25
	ds_write_b16 v31, v52 offset:32
	ds_write_b16 v31, v16 offset:64
	v_lshrrev_b32_e32 v16, 4, v56
	v_mul_u32_u24_e32 v16, 48, v16
	v_or_b32_e32 v16, v16, v54
	v_add_f16_e32 v37, v37, v45
	v_lshl_add_u32 v35, v16, 1, 0
	ds_write_b16 v35, v37
	ds_write_b16 v35, v55 offset:32
	ds_write_b16 v35, v14 offset:64
	v_lshrrev_b32_e32 v14, 4, v57
	v_mul_u32_u24_e32 v14, 48, v14
	v_or_b32_e32 v14, v14, v54
	v_lshl_add_u32 v37, v14, 1, 0
	v_lshrrev_b32_e32 v14, 4, v58
	v_mul_u32_u24_e32 v14, 48, v14
	v_or_b32_e32 v14, v14, v54
	ds_write_b16 v37, v38
	ds_write_b16 v37, v39 offset:32
	ds_write_b16 v37, v15 offset:64
	v_lshl_add_u32 v38, v14, 1, 0
	v_lshl_add_u32 v39, v5, 1, 0
	;; [unrolled: 1-line block ×3, first 2 shown]
	ds_write_b16 v38, v41
	ds_write_b16 v38, v53 offset:32
	ds_write_b16 v38, v12 offset:64
	ds_write_b16 v39, v59
	ds_write_b16 v39, v60 offset:32
	ds_write_b16 v39, v11 offset:64
	s_and_saveexec_b64 s[4:5], s[0:1]
	s_cbranch_execz .LBB0_19
; %bb.18:
	v_add_f16_e32 v5, v26, v27
	v_fma_f16 v5, v5, -0.5, v10
	v_add_f16_e32 v10, v10, v26
	v_sub_f16_e32 v11, v28, v29
	v_add_f16_e32 v10, v10, v27
	v_fma_f16 v12, v11, s11, v5
	v_fma_f16 v5, v11, s10, v5
	ds_write_b16 v25, v10 offset:1440
	ds_write_b16 v25, v5 offset:1472
	;; [unrolled: 1-line block ×3, first 2 shown]
.LBB0_19:
	s_or_b64 exec, exec, s[4:5]
	v_add_f16_e32 v5, v20, v50
	v_add_f16_e32 v41, v5, v51
	v_add_f16_e32 v5, v50, v51
	v_fma_f16 v5, v5, -0.5, v20
	v_sub_f16_e32 v10, v46, v48
	v_fma_f16 v46, v10, s11, v5
	v_fma_f16 v48, v10, s10, v5
	v_add_f16_e32 v5, v19, v47
	v_add_f16_e32 v50, v5, v49
	v_add_f16_e32 v5, v47, v49
	v_fma_f16 v5, v5, -0.5, v19
	v_sub_f16_e32 v10, v44, v45
	v_fma_f16 v44, v10, s11, v5
	v_fma_f16 v45, v10, s10, v5
	;; [unrolled: 7-line block ×5, first 2 shown]
	s_waitcnt lgkmcnt(0)
	; wave barrier
	s_waitcnt lgkmcnt(0)
	ds_read_u16 v13, v8 offset:96
	ds_read_u16 v18, v8 offset:192
	;; [unrolled: 1-line block ×6, first 2 shown]
	ds_read_u16 v5, v8
	ds_read_u16 v10, v9
	ds_read_u16 v14, v8 offset:864
	ds_read_u16 v20, v8 offset:960
	;; [unrolled: 1-line block ×8, first 2 shown]
	s_waitcnt lgkmcnt(0)
	; wave barrier
	s_waitcnt lgkmcnt(0)
	ds_write_b16 v31, v41
	ds_write_b16 v31, v46 offset:32
	ds_write_b16 v31, v48 offset:64
	ds_write_b16 v35, v50
	ds_write_b16 v35, v44 offset:32
	ds_write_b16 v35, v45 offset:64
	;; [unrolled: 3-line block ×5, first 2 shown]
	s_and_saveexec_b64 s[4:5], s[0:1]
	s_cbranch_execz .LBB0_21
; %bb.20:
	v_add_f16_e32 v30, v0, v28
	v_add_f16_e32 v28, v28, v29
	v_fma_f16 v0, v28, -0.5, v0
	v_sub_f16_e32 v26, v26, v27
	s_movk_i32 s0, 0x3aee
	v_add_f16_e32 v30, v30, v29
	v_fma_f16 v27, v26, s0, v0
	s_mov_b32 s0, 0xbaee
	v_fma_f16 v0, v26, s0, v0
	ds_write_b16 v25, v30 offset:1440
	ds_write_b16 v25, v27 offset:1472
	;; [unrolled: 1-line block ×3, first 2 shown]
.LBB0_21:
	s_or_b64 exec, exec, s[4:5]
	s_waitcnt lgkmcnt(0)
	; wave barrier
	s_waitcnt lgkmcnt(0)
	s_and_saveexec_b64 s[0:1], vcc
	s_cbranch_execz .LBB0_23
; %bb.22:
	v_mul_u32_u24_e32 v0, 15, v1
	v_lshlrev_b32_e32 v0, 2, v0
	global_load_dwordx4 v[26:29], v0, s[8:9] offset:128
	global_load_dwordx4 v[30:33], v0, s[8:9] offset:160
	;; [unrolled: 1-line block ×3, first 2 shown]
	global_load_dwordx3 v[38:40], v0, s[8:9] offset:176
	v_mul_lo_u32 v41, s3, v6
	v_mad_u64_u32 v[0:1], s[0:1], s2, v6, 0
	ds_read_u16 v6, v25 offset:480
	ds_read_u16 v25, v8 offset:1440
	;; [unrolled: 1-line block ×7, first 2 shown]
	ds_read_u16 v9, v9
	ds_read_u16 v47, v8 offset:864
	ds_read_u16 v48, v8 offset:768
	;; [unrolled: 1-line block ×7, first 2 shown]
	ds_read_u16 v8, v8
	v_mul_lo_u32 v7, s2, v7
	v_add3_u32 v1, v1, v7, v41
	s_mov_b32 s0, 0xb9a8
	s_movk_i32 s1, 0x39a8
	s_movk_i32 s2, 0x361f
	s_movk_i32 s3, 0x3b64
	s_mov_b32 s4, 0xbb64
	s_mov_b32 s5, 0xb61f
	v_lshl_add_u64 v[0:1], v[0:1], 2, s[6:7]
	v_lshl_add_u64 v[0:1], v[2:3], 2, v[0:1]
	s_waitcnt vmcnt(3)
	v_mul_f16_sdwa v63, v21, v28 dst_sel:DWORD dst_unused:UNUSED_PAD src0_sel:DWORD src1_sel:WORD_1
	s_waitcnt lgkmcnt(3)
	v_mul_f16_sdwa v67, v51, v28 dst_sel:DWORD dst_unused:UNUSED_PAD src0_sel:DWORD src1_sel:WORD_1
	s_waitcnt vmcnt(1)
	v_lshrrev_b32_e32 v55, 16, v35
	v_mul_f16_sdwa v69, v18, v27 dst_sel:DWORD dst_unused:UNUSED_PAD src0_sel:DWORD src1_sel:WORD_1
	s_waitcnt lgkmcnt(2)
	v_mul_f16_sdwa v74, v52, v27 dst_sel:DWORD dst_unused:UNUSED_PAD src0_sel:DWORD src1_sel:WORD_1
	v_mul_f16_sdwa v41, v14, v30 dst_sel:DWORD dst_unused:UNUSED_PAD src0_sel:DWORD src1_sel:WORD_1
	v_lshrrev_b32_e32 v54, 16, v34
	s_waitcnt vmcnt(0)
	v_lshrrev_b32_e32 v59, 16, v38
	v_mul_f16_sdwa v64, v23, v32 dst_sel:DWORD dst_unused:UNUSED_PAD src0_sel:DWORD src1_sel:WORD_1
	v_mul_f16_sdwa v68, v45, v32 dst_sel:DWORD dst_unused:UNUSED_PAD src0_sel:DWORD src1_sel:WORD_1
	;; [unrolled: 1-line block ×3, first 2 shown]
	v_mul_f16_e32 v71, v17, v35
	v_fma_f16 v51, v51, v28, -v63
	v_fma_f16 v21, v21, v28, v67
	v_fma_f16 v28, v52, v27, -v69
	v_fma_f16 v18, v18, v27, v74
	v_mul_f16_sdwa v27, v10, v29 dst_sel:DWORD dst_unused:UNUSED_PAD src0_sel:DWORD src1_sel:WORD_1
	v_mul_f16_e32 v17, v17, v55
	v_lshrrev_b32_e32 v56, 16, v36
	v_lshrrev_b32_e32 v57, 16, v37
	v_mul_f16_e32 v58, v16, v34
	v_lshrrev_b32_e32 v60, 16, v39
	v_lshrrev_b32_e32 v61, 16, v40
	v_mul_f16_e32 v62, v15, v38
	v_mul_f16_e32 v65, v22, v36
	;; [unrolled: 1-line block ×3, first 2 shown]
	v_fma_f16 v41, v47, v30, -v41
	v_fma_f16 v45, v45, v32, -v64
	v_fma_f16 v23, v23, v32, v68
	v_fma_f16 v32, v46, v31, -v70
	v_fma_f16 v52, v50, v55, v71
	v_fma_f16 v27, v9, v29, -v27
	v_mul_f16_sdwa v46, v46, v31 dst_sel:DWORD dst_unused:UNUSED_PAD src0_sel:DWORD src1_sel:WORD_1
	v_fma_f16 v17, v50, v35, -v17
	s_waitcnt lgkmcnt(1)
	v_mul_f16_sdwa v50, v53, v26 dst_sel:DWORD dst_unused:UNUSED_PAD src0_sel:DWORD src1_sel:WORD_1
	v_mul_f16_sdwa v47, v47, v30 dst_sel:DWORD dst_unused:UNUSED_PAD src0_sel:DWORD src1_sel:WORD_1
	v_mul_f16_e32 v16, v16, v54
	v_mul_f16_e32 v15, v15, v59
	v_mul_f16_sdwa v9, v9, v29 dst_sel:DWORD dst_unused:UNUSED_PAD src0_sel:DWORD src1_sel:WORD_1
	v_mul_f16_sdwa v7, v13, v26 dst_sel:DWORD dst_unused:UNUSED_PAD src0_sel:DWORD src1_sel:WORD_1
	v_mul_f16_e32 v66, v24, v40
	v_mul_f16_e32 v73, v11, v37
	v_fma_f16 v58, v6, v54, v58
	v_fma_f16 v63, v49, v56, v65
	v_mul_f16_e32 v22, v22, v56
	v_mul_f16_e32 v24, v24, v61
	v_fma_f16 v56, v42, v60, v72
	v_fma_f16 v20, v20, v31, v46
	v_mul_f16_sdwa v31, v12, v33 dst_sel:DWORD dst_unused:UNUSED_PAD src0_sel:DWORD src1_sel:WORD_1
	v_mul_f16_e32 v19, v19, v60
	v_fma_f16 v13, v13, v26, v50
	v_fma_f16 v14, v14, v30, v47
	v_fma_f16 v6, v6, v34, -v16
	v_fma_f16 v15, v43, v38, -v15
	v_mul_f16_e32 v11, v11, v57
	v_fma_f16 v9, v10, v29, v9
	v_mul_f16_sdwa v10, v44, v33 dst_sel:DWORD dst_unused:UNUSED_PAD src0_sel:DWORD src1_sel:WORD_1
	v_fma_f16 v62, v43, v59, v62
	v_fma_f16 v64, v25, v61, v66
	;; [unrolled: 1-line block ×3, first 2 shown]
	v_fma_f16 v22, v49, v36, -v22
	v_fma_f16 v24, v25, v40, -v24
	v_sub_f16_e32 v25, v28, v32
	v_sub_f16_e32 v32, v52, v56
	v_fma_f16 v31, v44, v33, -v31
	v_fma_f16 v19, v42, v39, -v19
	v_sub_f16_e32 v14, v13, v14
	v_sub_f16_e32 v15, v6, v15
	v_fma_f16 v11, v48, v37, -v11
	v_fma_f16 v10, v12, v33, v10
	v_fma_f16 v7, v53, v26, -v7
	v_sub_f16_e32 v62, v58, v62
	v_sub_f16_e32 v45, v51, v45
	v_sub_f16_e32 v23, v21, v23
	v_sub_f16_e32 v36, v5, v61
	v_sub_f16_e32 v24, v22, v24
	v_sub_f16_e32 v56, v25, v32
	v_sub_f16_e32 v31, v27, v31
	v_sub_f16_e32 v20, v18, v20
	v_sub_f16_e32 v19, v17, v19
	v_add_f16_e32 v16, v14, v15
	s_waitcnt lgkmcnt(0)
	v_sub_f16_e32 v11, v8, v11
	v_sub_f16_e32 v10, v9, v10
	;; [unrolled: 1-line block ×4, first 2 shown]
	v_add_f16_e32 v66, v23, v24
	v_fma_f16 v67, v25, 2.0, -v56
	v_add_f16_e32 v46, v36, v31
	v_add_f16_e32 v39, v20, v19
	v_fma_f16 v30, v14, 2.0, -v16
	v_sub_f16_e32 v12, v11, v10
	v_fma_f16 v5, v5, 2.0, -v36
	v_fma_f16 v9, v9, 2.0, -v10
	v_fma_f16 v10, v28, 2.0, -v25
	v_fma_f16 v17, v17, 2.0, -v19
	v_fma_f16 v13, v13, 2.0, -v14
	v_fma_f16 v14, v58, 2.0, -v62
	v_fma_f16 v25, v51, 2.0, -v45
	v_fma_f16 v22, v22, 2.0, -v24
	v_sub_f16_e32 v40, v41, v62
	v_sub_f16_e32 v49, v45, v64
	v_fma_f16 v69, v23, 2.0, -v66
	v_fma_f16 v35, v36, 2.0, -v46
	;; [unrolled: 1-line block ×8, first 2 shown]
	v_sub_f16_e32 v9, v5, v9
	v_sub_f16_e32 v17, v10, v17
	v_sub_f16_e32 v14, v13, v14
	v_sub_f16_e32 v22, v25, v22
	v_fma_f16 v8, v8, 2.0, -v11
	v_fma_f16 v11, v27, 2.0, -v31
	;; [unrolled: 1-line block ×6, first 2 shown]
	v_fma_f16 v26, v42, s0, v35
	v_fma_f16 v34, v69, s0, v30
	v_sub_f16_e32 v6, v7, v6
	v_sub_f16_e32 v21, v15, v21
	v_add_f16_e32 v19, v17, v9
	v_add_f16_e32 v24, v14, v22
	v_sub_f16_e32 v11, v8, v11
	v_sub_f16_e32 v20, v18, v20
	v_fma_f16 v68, v65, s0, v61
	v_fma_f16 v26, v67, s1, v26
	;; [unrolled: 1-line block ×3, first 2 shown]
	v_sub_f16_e32 v23, v6, v21
	v_fma_f16 v28, v24, s1, v19
	v_sub_f16_e32 v27, v11, v20
	v_fma_f16 v68, v69, s0, v68
	v_fma_f16 v38, v34, s2, v26
	;; [unrolled: 1-line block ×4, first 2 shown]
	v_fma_f16 v23, v6, 2.0, -v23
	v_fma_f16 v41, v9, 2.0, -v19
	;; [unrolled: 1-line block ×6, first 2 shown]
	v_fma_f16 v38, v68, s3, v38
	v_fma_f16 v33, v67, s0, v29
	;; [unrolled: 1-line block ×3, first 2 shown]
	v_fma_f16 v51, v11, 2.0, -v27
	v_sub_f16_e32 v9, v5, v9
	v_sub_f16_e32 v7, v6, v7
	v_fma_f16 v8, v8, 2.0, -v11
	v_fma_f16 v10, v10, 2.0, -v17
	;; [unrolled: 1-line block ×4, first 2 shown]
	v_fma_f16 v33, v42, s0, v33
	v_fma_f16 v42, v39, s1, v46
	;; [unrolled: 1-line block ×6, first 2 shown]
	v_fma_f16 v32, v26, 2.0, -v38
	v_fma_f16 v24, v14, 2.0, -v24
	v_add_f16_e32 v18, v7, v9
	v_sub_f16_e32 v10, v8, v10
	v_sub_f16_e32 v13, v11, v13
	v_fma_f16 v22, v35, 2.0, -v26
	v_fma_f16 v26, v30, 2.0, -v34
	v_fma_f16 v42, v56, s1, v42
	v_fma_f16 v43, v66, s0, v43
	;; [unrolled: 1-line block ×4, first 2 shown]
	v_fma_f16 v20, v9, 2.0, -v18
	v_fma_f16 v25, v61, 2.0, -v68
	v_fma_f16 v30, v26, s4, v22
	v_fma_f16 v29, v29, 2.0, -v33
	v_fma_f16 v5, v5, 2.0, -v9
	;; [unrolled: 1-line block ×5, first 2 shown]
	v_fma_f16 v47, v44, s3, v42
	v_fma_f16 v49, v43, s3, v39
	;; [unrolled: 1-line block ×6, first 2 shown]
	v_sub_f16_e32 v9, v5, v9
	v_sub_f16_e32 v6, v8, v6
	v_fma_f16 v47, v43, s2, v47
	v_fma_f16 v49, v44, s5, v49
	;; [unrolled: 1-line block ×3, first 2 shown]
	v_fma_f16 v24, v46, 2.0, -v42
	v_fma_f16 v40, v40, 2.0, -v43
	;; [unrolled: 1-line block ×4, first 2 shown]
	v_fma_f16 v25, v26, s5, v25
	v_fma_f16 v11, v5, 2.0, -v9
	v_fma_f16 v8, v8, 2.0, -v6
	v_mov_b32_e32 v5, 0
	v_fma_f16 v48, v42, 2.0, -v47
	v_fma_f16 v50, v39, 2.0, -v49
	v_fma_f16 v42, v16, s5, v24
	v_fma_f16 v39, v40, s5, v12
	v_fma_f16 v22, v22, 2.0, -v30
	v_fma_f16 v26, v29, 2.0, -v25
	v_lshl_add_u64 v[0:1], v[4:5], 2, v[0:1]
	v_pack_b32_f16 v2, v11, v8
	v_fma_f16 v42, v40, s3, v42
	v_fma_f16 v16, v16, s4, v39
	v_fma_f16 v15, v41, 2.0, -v45
	v_fma_f16 v17, v51, 2.0, -v23
	global_store_dword v[0:1], v2, off
	v_pack_b32_f16 v2, v22, v26
	v_fma_f16 v37, v68, s2, v33
	v_fma_f16 v24, v24, 2.0, -v42
	v_fma_f16 v12, v12, 2.0, -v16
	v_sub_f16_e32 v14, v10, v13
	global_store_dword v[0:1], v2, off offset:192
	v_pack_b32_f16 v2, v15, v17
	v_fma_f16 v37, v34, s4, v37
	v_fma_f16 v21, v10, 2.0, -v14
	global_store_dword v[0:1], v2, off offset:384
	v_pack_b32_f16 v2, v24, v12
	v_fma_f16 v36, v33, 2.0, -v37
	global_store_dword v[0:1], v2, off offset:576
	v_pack_b32_f16 v2, v20, v21
	v_fma_f16 v7, v19, 2.0, -v28
	v_fma_f16 v10, v27, 2.0, -v31
	global_store_dword v[0:1], v2, off offset:768
	v_pack_b32_f16 v2, v32, v36
	global_store_dword v[0:1], v2, off offset:960
	v_pack_b32_f16 v2, v7, v10
	;; [unrolled: 2-line block ×11, first 2 shown]
	global_store_dword v[0:1], v2, off offset:2880
.LBB0_23:
	s_endpgm
	.section	.rodata,"a",@progbits
	.p2align	6, 0x0
	.amdhsa_kernel fft_rtc_back_len768_factors_16_3_16_wgs_48_tpt_48_halfLds_half_op_CI_CI_unitstride_sbrr_dirReg
		.amdhsa_group_segment_fixed_size 0
		.amdhsa_private_segment_fixed_size 0
		.amdhsa_kernarg_size 104
		.amdhsa_user_sgpr_count 2
		.amdhsa_user_sgpr_dispatch_ptr 0
		.amdhsa_user_sgpr_queue_ptr 0
		.amdhsa_user_sgpr_kernarg_segment_ptr 1
		.amdhsa_user_sgpr_dispatch_id 0
		.amdhsa_user_sgpr_kernarg_preload_length 0
		.amdhsa_user_sgpr_kernarg_preload_offset 0
		.amdhsa_user_sgpr_private_segment_size 0
		.amdhsa_uses_dynamic_stack 0
		.amdhsa_enable_private_segment 0
		.amdhsa_system_sgpr_workgroup_id_x 1
		.amdhsa_system_sgpr_workgroup_id_y 0
		.amdhsa_system_sgpr_workgroup_id_z 0
		.amdhsa_system_sgpr_workgroup_info 0
		.amdhsa_system_vgpr_workitem_id 0
		.amdhsa_next_free_vgpr 80
		.amdhsa_next_free_sgpr 28
		.amdhsa_accum_offset 80
		.amdhsa_reserve_vcc 1
		.amdhsa_float_round_mode_32 0
		.amdhsa_float_round_mode_16_64 0
		.amdhsa_float_denorm_mode_32 3
		.amdhsa_float_denorm_mode_16_64 3
		.amdhsa_dx10_clamp 1
		.amdhsa_ieee_mode 1
		.amdhsa_fp16_overflow 0
		.amdhsa_tg_split 0
		.amdhsa_exception_fp_ieee_invalid_op 0
		.amdhsa_exception_fp_denorm_src 0
		.amdhsa_exception_fp_ieee_div_zero 0
		.amdhsa_exception_fp_ieee_overflow 0
		.amdhsa_exception_fp_ieee_underflow 0
		.amdhsa_exception_fp_ieee_inexact 0
		.amdhsa_exception_int_div_zero 0
	.end_amdhsa_kernel
	.text
.Lfunc_end0:
	.size	fft_rtc_back_len768_factors_16_3_16_wgs_48_tpt_48_halfLds_half_op_CI_CI_unitstride_sbrr_dirReg, .Lfunc_end0-fft_rtc_back_len768_factors_16_3_16_wgs_48_tpt_48_halfLds_half_op_CI_CI_unitstride_sbrr_dirReg
                                        ; -- End function
	.section	.AMDGPU.csdata,"",@progbits
; Kernel info:
; codeLenInByte = 6984
; NumSgprs: 34
; NumVgprs: 80
; NumAgprs: 0
; TotalNumVgprs: 80
; ScratchSize: 0
; MemoryBound: 0
; FloatMode: 240
; IeeeMode: 1
; LDSByteSize: 0 bytes/workgroup (compile time only)
; SGPRBlocks: 4
; VGPRBlocks: 9
; NumSGPRsForWavesPerEU: 34
; NumVGPRsForWavesPerEU: 80
; AccumOffset: 80
; Occupancy: 6
; WaveLimiterHint : 1
; COMPUTE_PGM_RSRC2:SCRATCH_EN: 0
; COMPUTE_PGM_RSRC2:USER_SGPR: 2
; COMPUTE_PGM_RSRC2:TRAP_HANDLER: 0
; COMPUTE_PGM_RSRC2:TGID_X_EN: 1
; COMPUTE_PGM_RSRC2:TGID_Y_EN: 0
; COMPUTE_PGM_RSRC2:TGID_Z_EN: 0
; COMPUTE_PGM_RSRC2:TIDIG_COMP_CNT: 0
; COMPUTE_PGM_RSRC3_GFX90A:ACCUM_OFFSET: 19
; COMPUTE_PGM_RSRC3_GFX90A:TG_SPLIT: 0
	.text
	.p2alignl 6, 3212836864
	.fill 256, 4, 3212836864
	.type	__hip_cuid_111369fb6d390692,@object ; @__hip_cuid_111369fb6d390692
	.section	.bss,"aw",@nobits
	.globl	__hip_cuid_111369fb6d390692
__hip_cuid_111369fb6d390692:
	.byte	0                               ; 0x0
	.size	__hip_cuid_111369fb6d390692, 1

	.ident	"AMD clang version 19.0.0git (https://github.com/RadeonOpenCompute/llvm-project roc-6.4.0 25133 c7fe45cf4b819c5991fe208aaa96edf142730f1d)"
	.section	".note.GNU-stack","",@progbits
	.addrsig
	.addrsig_sym __hip_cuid_111369fb6d390692
	.amdgpu_metadata
---
amdhsa.kernels:
  - .agpr_count:     0
    .args:
      - .actual_access:  read_only
        .address_space:  global
        .offset:         0
        .size:           8
        .value_kind:     global_buffer
      - .offset:         8
        .size:           8
        .value_kind:     by_value
      - .actual_access:  read_only
        .address_space:  global
        .offset:         16
        .size:           8
        .value_kind:     global_buffer
      - .actual_access:  read_only
        .address_space:  global
        .offset:         24
        .size:           8
        .value_kind:     global_buffer
      - .actual_access:  read_only
        .address_space:  global
        .offset:         32
        .size:           8
        .value_kind:     global_buffer
      - .offset:         40
        .size:           8
        .value_kind:     by_value
      - .actual_access:  read_only
        .address_space:  global
        .offset:         48
        .size:           8
        .value_kind:     global_buffer
      - .actual_access:  read_only
        .address_space:  global
        .offset:         56
        .size:           8
        .value_kind:     global_buffer
      - .offset:         64
        .size:           4
        .value_kind:     by_value
      - .actual_access:  read_only
        .address_space:  global
        .offset:         72
        .size:           8
        .value_kind:     global_buffer
      - .actual_access:  read_only
        .address_space:  global
        .offset:         80
        .size:           8
        .value_kind:     global_buffer
      - .actual_access:  read_only
        .address_space:  global
        .offset:         88
        .size:           8
        .value_kind:     global_buffer
      - .actual_access:  write_only
        .address_space:  global
        .offset:         96
        .size:           8
        .value_kind:     global_buffer
    .group_segment_fixed_size: 0
    .kernarg_segment_align: 8
    .kernarg_segment_size: 104
    .language:       OpenCL C
    .language_version:
      - 2
      - 0
    .max_flat_workgroup_size: 48
    .name:           fft_rtc_back_len768_factors_16_3_16_wgs_48_tpt_48_halfLds_half_op_CI_CI_unitstride_sbrr_dirReg
    .private_segment_fixed_size: 0
    .sgpr_count:     34
    .sgpr_spill_count: 0
    .symbol:         fft_rtc_back_len768_factors_16_3_16_wgs_48_tpt_48_halfLds_half_op_CI_CI_unitstride_sbrr_dirReg.kd
    .uniform_work_group_size: 1
    .uses_dynamic_stack: false
    .vgpr_count:     80
    .vgpr_spill_count: 0
    .wavefront_size: 64
amdhsa.target:   amdgcn-amd-amdhsa--gfx950
amdhsa.version:
  - 1
  - 2
...

	.end_amdgpu_metadata
